;; amdgpu-corpus repo=ROCm/rocFFT kind=compiled arch=gfx950 opt=O3
	.text
	.amdgcn_target "amdgcn-amd-amdhsa--gfx950"
	.amdhsa_code_object_version 6
	.protected	fft_rtc_back_len884_factors_13_4_17_wgs_204_tpt_68_halfLds_half_op_CI_CI_unitstride_sbrr_dirReg ; -- Begin function fft_rtc_back_len884_factors_13_4_17_wgs_204_tpt_68_halfLds_half_op_CI_CI_unitstride_sbrr_dirReg
	.globl	fft_rtc_back_len884_factors_13_4_17_wgs_204_tpt_68_halfLds_half_op_CI_CI_unitstride_sbrr_dirReg
	.p2align	8
	.type	fft_rtc_back_len884_factors_13_4_17_wgs_204_tpt_68_halfLds_half_op_CI_CI_unitstride_sbrr_dirReg,@function
fft_rtc_back_len884_factors_13_4_17_wgs_204_tpt_68_halfLds_half_op_CI_CI_unitstride_sbrr_dirReg: ; @fft_rtc_back_len884_factors_13_4_17_wgs_204_tpt_68_halfLds_half_op_CI_CI_unitstride_sbrr_dirReg
; %bb.0:
	s_load_dwordx4 s[4:7], s[0:1], 0x58
	s_load_dwordx4 s[8:11], s[0:1], 0x0
	;; [unrolled: 1-line block ×3, first 2 shown]
	v_mul_u32_u24_e32 v1, 0x3c4, v0
	v_lshrrev_b32_e32 v2, 16, v1
	v_mad_u64_u32 v[2:3], s[2:3], s2, 3, v[2:3]
	v_mov_b32_e32 v6, 0
	v_mov_b32_e32 v3, v6
	s_waitcnt lgkmcnt(0)
	v_cmp_lt_u64_e64 s[2:3], s[10:11], 2
	v_mov_b64_e32 v[4:5], 0
	s_and_b64 vcc, exec, s[2:3]
	v_mov_b64_e32 v[16:17], v[4:5]
	v_mov_b64_e32 v[20:21], v[2:3]
	s_cbranch_vccnz .LBB0_8
; %bb.1:
	s_load_dwordx2 s[2:3], s[0:1], 0x10
	s_add_u32 s16, s14, 8
	s_addc_u32 s17, s15, 0
	s_add_u32 s18, s12, 8
	s_addc_u32 s19, s13, 0
	s_waitcnt lgkmcnt(0)
	s_add_u32 s20, s2, 8
	v_mov_b64_e32 v[4:5], 0
	s_addc_u32 s21, s3, 0
	s_mov_b64 s[22:23], 1
	v_mov_b64_e32 v[16:17], v[4:5]
	v_mov_b64_e32 v[8:9], v[2:3]
.LBB0_2:                                ; =>This Inner Loop Header: Depth=1
	s_load_dwordx2 s[24:25], s[20:21], 0x0
                                        ; implicit-def: $vgpr20_vgpr21
	s_waitcnt lgkmcnt(0)
	v_or_b32_e32 v7, s25, v9
	v_cmp_ne_u64_e32 vcc, 0, v[6:7]
	s_and_saveexec_b64 s[2:3], vcc
	s_xor_b64 s[26:27], exec, s[2:3]
	s_cbranch_execz .LBB0_4
; %bb.3:                                ;   in Loop: Header=BB0_2 Depth=1
	v_cvt_f32_u32_e32 v1, s24
	v_cvt_f32_u32_e32 v3, s25
	s_sub_u32 s2, 0, s24
	s_subb_u32 s3, 0, s25
	v_fmac_f32_e32 v1, 0x4f800000, v3
	v_rcp_f32_e32 v1, v1
	s_nop 0
	v_mul_f32_e32 v1, 0x5f7ffffc, v1
	v_mul_f32_e32 v3, 0x2f800000, v1
	v_trunc_f32_e32 v3, v3
	v_fmac_f32_e32 v1, 0xcf800000, v3
	v_cvt_u32_f32_e32 v3, v3
	v_cvt_u32_f32_e32 v1, v1
	v_mul_lo_u32 v7, s2, v3
	v_mul_hi_u32 v10, s2, v1
	v_mul_lo_u32 v11, s3, v1
	v_add_u32_e32 v7, v10, v7
	v_mul_lo_u32 v14, s2, v1
	v_add_u32_e32 v7, v7, v11
	v_mul_hi_u32 v10, v1, v14
	v_mul_hi_u32 v13, v1, v7
	v_mul_lo_u32 v12, v1, v7
	v_mov_b32_e32 v11, v6
	v_lshl_add_u64 v[10:11], v[10:11], 0, v[12:13]
	v_mul_hi_u32 v13, v3, v14
	v_mul_lo_u32 v14, v3, v14
	v_add_co_u32_e32 v10, vcc, v10, v14
	v_mul_hi_u32 v12, v3, v7
	s_nop 0
	v_addc_co_u32_e32 v10, vcc, v11, v13, vcc
	v_mov_b32_e32 v11, v6
	s_nop 0
	v_addc_co_u32_e32 v13, vcc, 0, v12, vcc
	v_mul_lo_u32 v12, v3, v7
	v_lshl_add_u64 v[10:11], v[10:11], 0, v[12:13]
	v_add_co_u32_e32 v1, vcc, v1, v10
	v_mul_hi_u32 v10, s2, v1
	s_nop 0
	v_addc_co_u32_e32 v3, vcc, v3, v11, vcc
	v_mul_lo_u32 v7, s2, v3
	v_add_u32_e32 v7, v10, v7
	v_mul_lo_u32 v10, s3, v1
	v_add_u32_e32 v7, v7, v10
	v_mul_lo_u32 v12, s2, v1
	v_mul_hi_u32 v15, v3, v12
	v_mul_lo_u32 v18, v3, v12
	v_mul_hi_u32 v11, v1, v7
	;; [unrolled: 2-line block ×3, first 2 shown]
	v_mov_b32_e32 v13, v6
	v_lshl_add_u64 v[10:11], v[12:13], 0, v[10:11]
	v_add_co_u32_e32 v10, vcc, v10, v18
	v_mul_hi_u32 v14, v3, v7
	s_nop 0
	v_addc_co_u32_e32 v10, vcc, v11, v15, vcc
	v_mul_lo_u32 v12, v3, v7
	s_nop 0
	v_addc_co_u32_e32 v13, vcc, 0, v14, vcc
	v_mov_b32_e32 v11, v6
	v_lshl_add_u64 v[10:11], v[10:11], 0, v[12:13]
	v_add_co_u32_e32 v1, vcc, v1, v10
	v_mul_hi_u32 v12, v8, v1
	s_nop 0
	v_addc_co_u32_e32 v3, vcc, v3, v11, vcc
	v_mad_u64_u32 v[10:11], s[2:3], v8, v3, 0
	v_mov_b32_e32 v13, v6
	v_lshl_add_u64 v[10:11], v[12:13], 0, v[10:11]
	v_mad_u64_u32 v[14:15], s[2:3], v9, v1, 0
	v_add_co_u32_e32 v1, vcc, v10, v14
	v_mad_u64_u32 v[12:13], s[2:3], v9, v3, 0
	s_nop 0
	v_addc_co_u32_e32 v10, vcc, v11, v15, vcc
	v_mov_b32_e32 v11, v6
	s_nop 0
	v_addc_co_u32_e32 v13, vcc, 0, v13, vcc
	v_lshl_add_u64 v[10:11], v[10:11], 0, v[12:13]
	v_mul_lo_u32 v1, s25, v10
	v_mul_lo_u32 v3, s24, v11
	v_mad_u64_u32 v[12:13], s[2:3], s24, v10, 0
	v_add3_u32 v1, v13, v3, v1
	v_sub_u32_e32 v3, v9, v1
	v_mov_b32_e32 v7, s25
	v_sub_co_u32_e32 v18, vcc, v8, v12
	v_lshl_add_u64 v[14:15], v[10:11], 0, 1
	s_nop 0
	v_subb_co_u32_e64 v3, s[2:3], v3, v7, vcc
	v_subrev_co_u32_e64 v7, s[2:3], s24, v18
	v_subb_co_u32_e32 v1, vcc, v9, v1, vcc
	s_nop 0
	v_subbrev_co_u32_e64 v3, s[2:3], 0, v3, s[2:3]
	v_cmp_le_u32_e64 s[2:3], s25, v3
	v_cmp_le_u32_e32 vcc, s25, v1
	s_nop 0
	v_cndmask_b32_e64 v12, 0, -1, s[2:3]
	v_cmp_le_u32_e64 s[2:3], s24, v7
	s_nop 1
	v_cndmask_b32_e64 v7, 0, -1, s[2:3]
	v_cmp_eq_u32_e64 s[2:3], s25, v3
	s_nop 1
	v_cndmask_b32_e64 v3, v12, v7, s[2:3]
	v_lshl_add_u64 v[12:13], v[10:11], 0, 2
	v_cmp_ne_u32_e64 s[2:3], 0, v3
	v_cndmask_b32_e64 v7, 0, -1, vcc
	v_cmp_le_u32_e32 vcc, s24, v18
	v_cndmask_b32_e64 v3, v15, v13, s[2:3]
	s_nop 0
	v_cndmask_b32_e64 v13, 0, -1, vcc
	v_cmp_eq_u32_e32 vcc, s25, v1
	s_nop 1
	v_cndmask_b32_e32 v1, v7, v13, vcc
	v_cmp_ne_u32_e32 vcc, 0, v1
	v_cndmask_b32_e64 v1, v14, v12, s[2:3]
	s_nop 0
	v_cndmask_b32_e32 v21, v11, v3, vcc
	v_cndmask_b32_e32 v20, v10, v1, vcc
.LBB0_4:                                ;   in Loop: Header=BB0_2 Depth=1
	s_andn2_saveexec_b64 s[2:3], s[26:27]
	s_cbranch_execz .LBB0_6
; %bb.5:                                ;   in Loop: Header=BB0_2 Depth=1
	v_cvt_f32_u32_e32 v1, s24
	s_sub_i32 s26, 0, s24
	v_mov_b32_e32 v21, v6
	v_rcp_iflag_f32_e32 v1, v1
	s_nop 0
	v_mul_f32_e32 v1, 0x4f7ffffe, v1
	v_cvt_u32_f32_e32 v1, v1
	v_mul_lo_u32 v3, s26, v1
	v_mul_hi_u32 v3, v1, v3
	v_add_u32_e32 v1, v1, v3
	v_mul_hi_u32 v1, v8, v1
	v_mul_lo_u32 v3, v1, s24
	v_sub_u32_e32 v3, v8, v3
	v_add_u32_e32 v7, 1, v1
	v_subrev_u32_e32 v10, s24, v3
	v_cmp_le_u32_e32 vcc, s24, v3
	s_nop 1
	v_cndmask_b32_e32 v3, v3, v10, vcc
	v_cndmask_b32_e32 v1, v1, v7, vcc
	v_add_u32_e32 v7, 1, v1
	v_cmp_le_u32_e32 vcc, s24, v3
	s_nop 1
	v_cndmask_b32_e32 v20, v1, v7, vcc
.LBB0_6:                                ;   in Loop: Header=BB0_2 Depth=1
	s_or_b64 exec, exec, s[2:3]
	v_mad_u64_u32 v[10:11], s[2:3], v20, s24, 0
	s_load_dwordx2 s[2:3], s[18:19], 0x0
	s_add_u32 s22, s22, 1
	v_mul_lo_u32 v1, v21, s24
	v_mul_lo_u32 v3, v20, s25
	s_load_dwordx2 s[24:25], s[16:17], 0x0
	s_addc_u32 s23, s23, 0
	v_add3_u32 v1, v11, v3, v1
	v_sub_co_u32_e32 v3, vcc, v8, v10
	s_add_u32 s16, s16, 8
	s_nop 0
	v_subb_co_u32_e32 v1, vcc, v9, v1, vcc
	s_addc_u32 s17, s17, 0
	s_waitcnt lgkmcnt(0)
	v_mul_lo_u32 v7, s2, v1
	v_mul_lo_u32 v8, s3, v3
	v_mad_u64_u32 v[4:5], s[2:3], s2, v3, v[4:5]
	s_add_u32 s18, s18, 8
	v_add3_u32 v5, v8, v5, v7
	s_addc_u32 s19, s19, 0
	v_mov_b64_e32 v[8:9], s[10:11]
	v_mul_lo_u32 v1, s24, v1
	v_mul_lo_u32 v7, s25, v3
	v_mad_u64_u32 v[16:17], s[2:3], s24, v3, v[16:17]
	s_add_u32 s20, s20, 8
	v_cmp_ge_u64_e32 vcc, s[22:23], v[8:9]
	v_add3_u32 v17, v7, v17, v1
	s_addc_u32 s21, s21, 0
	s_cbranch_vccnz .LBB0_8
; %bb.7:                                ;   in Loop: Header=BB0_2 Depth=1
	v_mov_b64_e32 v[8:9], v[20:21]
	s_branch .LBB0_2
.LBB0_8:
	s_load_dwordx2 s[0:1], s[0:1], 0x28
	s_lshl_b64 s[10:11], s[10:11], 3
	s_add_u32 s2, s14, s10
	s_addc_u32 s3, s15, s11
                                        ; implicit-def: $sgpr14
                                        ; implicit-def: $vgpr18
	s_waitcnt lgkmcnt(0)
	v_cmp_gt_u64_e32 vcc, s[0:1], v[20:21]
	v_cmp_le_u64_e64 s[0:1], s[0:1], v[20:21]
	s_and_saveexec_b64 s[16:17], s[0:1]
	s_xor_b64 s[0:1], exec, s[16:17]
; %bb.9:
	s_mov_b32 s14, 0x3c3c3c4
	v_mul_hi_u32 v1, v0, s14
	v_mul_u32_u24_e32 v1, 0x44, v1
	v_sub_u32_e32 v18, v0, v1
	s_mov_b32 s14, 0
                                        ; implicit-def: $vgpr0
                                        ; implicit-def: $vgpr4_vgpr5
; %bb.10:
	s_or_saveexec_b64 s[0:1], s[0:1]
	v_mov_b32_e32 v1, s14
                                        ; implicit-def: $vgpr36
                                        ; implicit-def: $vgpr14
                                        ; implicit-def: $vgpr34
                                        ; implicit-def: $vgpr13
                                        ; implicit-def: $vgpr32
                                        ; implicit-def: $vgpr12
                                        ; implicit-def: $vgpr30
                                        ; implicit-def: $vgpr10
                                        ; implicit-def: $vgpr29
                                        ; implicit-def: $vgpr8
                                        ; implicit-def: $vgpr26
                                        ; implicit-def: $vgpr6
                                        ; implicit-def: $vgpr27
                                        ; implicit-def: $vgpr9
                                        ; implicit-def: $vgpr31
                                        ; implicit-def: $vgpr25
                                        ; implicit-def: $vgpr35
                                        ; implicit-def: $vgpr28
                                        ; implicit-def: $vgpr38
                                        ; implicit-def: $vgpr33
                                        ; implicit-def: $vgpr40
                                        ; implicit-def: $vgpr37
                                        ; implicit-def: $vgpr41
                                        ; implicit-def: $vgpr39
	s_xor_b64 exec, exec, s[0:1]
	s_cbranch_execz .LBB0_12
; %bb.11:
	s_add_u32 s10, s12, s10
	s_addc_u32 s11, s13, s11
	s_load_dwordx2 s[10:11], s[10:11], 0x0
	s_mov_b32 s12, 0x3c3c3c4
	s_waitcnt lgkmcnt(0)
	v_mul_lo_u32 v1, s11, v20
	v_mul_lo_u32 v3, s10, v21
	v_mad_u64_u32 v[6:7], s[10:11], s10, v20, 0
	v_add3_u32 v7, v7, v3, v1
	v_mul_hi_u32 v1, v0, s12
	v_mul_u32_u24_e32 v1, 0x44, v1
	v_sub_u32_e32 v18, v0, v1
	v_lshl_add_u64 v[0:1], v[6:7], 2, s[4:5]
	v_lshl_add_u64 v[0:1], v[4:5], 2, v[0:1]
	v_lshlrev_b32_e32 v4, 2, v18
	v_mov_b32_e32 v5, 0
	v_lshl_add_u64 v[4:5], v[0:1], 0, v[4:5]
	global_load_dword v14, v[4:5], off offset:272
	global_load_dword v13, v[4:5], off offset:544
	;; [unrolled: 1-line block ×12, first 2 shown]
	global_load_dword v1, v[4:5], off
	s_waitcnt vmcnt(12)
	v_lshrrev_b32_e32 v36, 16, v14
	s_waitcnt vmcnt(11)
	v_lshrrev_b32_e32 v34, 16, v13
	;; [unrolled: 2-line block ×12, first 2 shown]
.LBB0_12:
	s_or_b64 exec, exec, s[0:1]
	s_mov_b32 s0, 0xaaaaaaab
	v_mul_hi_u32 v0, v2, s0
	v_lshrrev_b32_e32 v0, 1, v0
	v_add_f16_e32 v5, v14, v39
	v_lshl_add_u32 v0, v0, 1, v0
	v_sub_f16_e32 v7, v36, v41
	v_mul_f16_e32 v15, 0x2fb7, v5
	s_mov_b32 s0, 0xbbf1
	v_add_f16_e32 v19, v13, v37
	v_sub_u32_e32 v0, v2, v0
	v_fma_f16 v2, v7, s0, v15
	s_mov_b32 s0, 0xb3a8
	v_sub_f16_e32 v22, v34, v40
	v_mul_f16_e32 v23, 0xbbc4, v19
	v_add_f16_e32 v24, v12, v33
	s_waitcnt vmcnt(0)
	v_add_f16_e32 v2, v2, v1
	v_fma_f16 v3, v22, s0, v23
	v_sub_f16_e32 v42, v32, v38
	v_mul_f16_e32 v43, 0xb5ac, v24
	s_movk_i32 s4, 0x3b7b
	v_add_f16_e32 v44, v10, v28
	v_add_f16_e32 v2, v3, v2
	s_movk_i32 s1, 0x3770
	v_fma_f16 v3, v42, s4, v43
	v_sub_f16_e32 v45, v30, v35
	v_mul_f16_e32 v46, 0x3b15, v44
	v_add_f16_e32 v47, v8, v25
	v_add_f16_e32 v2, v3, v2
	v_fma_f16 v3, v45, s1, v46
	v_sub_f16_e32 v48, v29, v31
	v_mul_f16_e32 v49, 0x388b, v47
	s_mov_b32 s5, 0xba95
	v_add_f16_e32 v50, v6, v9
	s_mov_b32 s4, 0xb94e
	v_add_f16_e32 v2, v3, v2
	v_fma_f16 v3, v48, s5, v49
	v_sub_f16_e32 v51, v26, v27
	v_mul_f16_e32 v52, 0xb9fd, v50
	s_mov_b32 s11, 0x388b3b15
	v_add_f16_e32 v2, v3, v2
	v_fma_f16 v3, v51, s4, v52
	v_pk_mul_f16 v53, v5, s11 op_sel_hi:[0,1]
	s_mov_b32 s22, 0xba95b770
	s_mov_b32 s10, 0xb5ac388b
	v_add_f16_e32 v2, v3, v2
	v_pk_fma_f16 v3, v7, s22, v53 op_sel_hi:[0,1,1]
	v_pk_mul_f16 v54, v19, s10 op_sel_hi:[0,1]
	s_mov_b32 s23, 0xbb7bba95
	s_mov_b32 s12, 0xbbc42fb7
	v_pk_add_f16 v3, v3, v1 op_sel_hi:[1,0]
	v_pk_fma_f16 v4, v22, s23, v54 op_sel_hi:[0,1,1]
	v_pk_mul_f16 v55, v24, s12 op_sel_hi:[0,1]
	s_mov_b32 s24, 0xb3a8bbf1
	s_mov_b32 s14, 0xb9fdb5ac
	v_pk_add_f16 v3, v4, v3
	v_pk_fma_f16 v4, v42, s24, v55 op_sel_hi:[0,1,1]
	v_pk_mul_f16 v56, v44, s14 op_sel_hi:[0,1]
	s_mov_b32 s25, 0x394ebb7b
	s_mov_b32 s15, 0x2fb7b9fd
	v_pk_add_f16 v3, v4, v3
	;; [unrolled: 5-line block ×3, first 2 shown]
	v_pk_fma_f16 v4, v48, s26, v57 op_sel_hi:[0,1,1]
	v_pk_mul_f16 v58, v50, s13 op_sel_hi:[0,1]
	s_mov_b32 s27, 0x3770b3a8
	v_pk_add_f16 v3, v4, v3
	v_pk_fma_f16 v4, v51, s27, v58 op_sel_hi:[0,1,1]
	v_pk_mul_f16 v59, v5, s14 op_sel_hi:[0,1]
	s_mov_b32 s16, 0xb94ebb7b
	v_pk_add_f16 v11, v4, v3
	v_pk_fma_f16 v3, v7, s16, v59 op_sel_hi:[0,1,1]
	v_pk_mul_f16 v60, v19, s15 op_sel_hi:[0,1]
	s_mov_b32 s17, 0x3bf1394e
	v_pk_add_f16 v3, v3, v1 op_sel_hi:[1,0]
	v_pk_fma_f16 v4, v22, s17, v60 op_sel_hi:[0,1,1]
	v_pk_mul_f16 v61, v24, s11 op_sel_hi:[0,1]
	s_mov_b32 s18, 0xba953770
	v_pk_add_f16 v3, v4, v3
	v_pk_fma_f16 v4, v42, s18, v61 op_sel_hi:[0,1,1]
	v_pk_mul_f16 v62, v44, s12 op_sel_hi:[0,1]
	s_mov_b32 s19, 0x33a8bbf1
	v_pk_add_f16 v3, v4, v3
	;; [unrolled: 4-line block ×3, first 2 shown]
	v_pk_fma_f16 v4, v48, s20, v63 op_sel_hi:[0,1,1]
	s_mov_b32 s21, 0xbb7b3a95
	v_pk_mul_f16 v64, v50, s10 op_sel_hi:[0,1]
	v_pk_add_f16 v3, v4, v3
	v_pk_fma_f16 v4, v51, s21, v64 op_sel_hi:[0,1,1]
	v_pk_add_f16 v4, v4, v3
	v_alignbit_b32 v3, v2, v11, 16
	v_add_f16_e32 v2, v14, v1
	v_add_f16_e32 v2, v13, v2
	;; [unrolled: 1-line block ×12, first 2 shown]
	v_pack_b32_f16 v2, v2, v11
	v_mul_u32_u24_e32 v11, 0x374, v0
	v_lshl_add_u32 v65, v11, 1, 0
	v_mad_u32_u24 v0, v18, 26, v65
	ds_write_b96 v0, v[2:4]
	v_mul_f16_e32 v2, 0xbbc4, v5
	v_fma_f16 v3, v7, s0, v2
	v_mul_f16_e32 v4, 0x3b15, v19
	v_add_f16_e32 v3, v3, v1
	v_fma_f16 v5, v22, s1, v4
	v_add_f16_e32 v3, v5, v3
	v_mul_f16_e32 v5, 0xb9fd, v24
	v_fma_f16 v19, v42, s4, v5
	v_add_f16_e32 v3, v19, v3
	v_mul_f16_e32 v19, 0x388b, v44
	s_movk_i32 s0, 0x3a95
	v_fma_f16 v24, v45, s0, v19
	v_mul_f16_e32 v44, 0xb5ac, v47
	s_mov_b32 s0, 0xbb7b
	v_add_f16_e32 v3, v24, v3
	v_fma_f16 v24, v48, s0, v44
	v_mul_f16_e32 v47, 0x2fb7, v50
	s_movk_i32 s0, 0x3bf1
	v_add_f16_e32 v3, v24, v3
	v_fma_f16 v24, v51, s0, v47
	v_add_f16_e32 v50, v24, v3
	v_pk_mul_f16 v3, v7, s22 op_sel_hi:[0,1]
	v_sub_f16_e32 v24, v53, v3
	v_pk_mul_f16 v66, v22, s23 op_sel_hi:[0,1]
	v_add_f16_e32 v24, v24, v1
	v_sub_f16_e32 v67, v54, v66
	v_add_f16_e32 v24, v67, v24
	v_pk_mul_f16 v67, v42, s24 op_sel_hi:[0,1]
	v_sub_f16_e32 v68, v55, v67
	v_add_f16_e32 v24, v68, v24
	v_pk_mul_f16 v68, v45, s25 op_sel_hi:[0,1]
	;; [unrolled: 3-line block ×5, first 2 shown]
	s_mov_b32 s28, 0xffff
	v_sub_f16_e32 v72, v59, v71
	v_bfi_b32 v2, s28, v2, v59
	v_mul_f16_e32 v59, 0xb3a8, v7
	v_bfi_b32 v59, s28, v59, v71
	v_pk_mul_f16 v73, v22, s17 op_sel_hi:[0,1]
	v_pk_add_f16 v2, v2, v59 neg_lo:[0,1] neg_hi:[0,1]
	v_mul_f16_e32 v59, 0x3770, v22
	v_bfi_b32 v4, s28, v4, v60
	v_bfi_b32 v59, s28, v59, v73
	v_add_f16_e32 v72, v72, v1
	v_sub_f16_e32 v74, v60, v73
	v_pk_add_f16 v4, v4, v59 neg_lo:[0,1] neg_hi:[0,1]
	v_pk_add_f16 v2, v2, v1 op_sel_hi:[1,0]
	v_add_f16_e32 v72, v74, v72
	v_pk_mul_f16 v74, v42, s18 op_sel_hi:[0,1]
	v_pk_add_f16 v2, v4, v2
	v_bfi_b32 v4, s28, v5, v61
	v_mul_f16_e32 v5, 0xb94e, v42
	v_sub_f16_e32 v75, v61, v74
	v_bfi_b32 v5, s28, v5, v74
	v_add_f16_e32 v72, v75, v72
	v_pk_mul_f16 v75, v45, s19 op_sel_hi:[0,1]
	v_pk_add_f16 v4, v4, v5 neg_lo:[0,1] neg_hi:[0,1]
	v_mul_f16_e32 v5, 0x3a95, v45
	v_sub_f16_e32 v76, v62, v75
	v_pk_add_f16 v2, v4, v2
	v_bfi_b32 v4, s28, v19, v62
	v_bfi_b32 v5, s28, v5, v75
	v_add_f16_e32 v72, v76, v72
	v_pk_mul_f16 v76, v48, s20 op_sel_hi:[0,1]
	v_pk_add_f16 v4, v4, v5 neg_lo:[0,1] neg_hi:[0,1]
	v_mul_f16_e32 v5, 0xbb7b, v48
	v_sub_f16_e32 v77, v63, v76
	v_pk_add_f16 v2, v4, v2
	v_bfi_b32 v4, s28, v44, v63
	v_bfi_b32 v5, s28, v5, v76
	v_add_f16_e32 v72, v77, v72
	v_pk_mul_f16 v77, v51, s21 op_sel_hi:[0,1]
	v_pk_add_f16 v4, v4, v5 neg_lo:[0,1] neg_hi:[0,1]
	v_mul_f16_e32 v5, 0x3bf1, v51
	v_pk_add_f16 v2, v4, v2
	v_bfi_b32 v4, s28, v47, v64
	v_bfi_b32 v5, s28, v5, v77
	v_mul_f16_e32 v7, 0xbbf1, v7
	v_pk_add_f16 v4, v4, v5 neg_lo:[0,1] neg_hi:[0,1]
	v_mul_f16_e32 v19, 0xb3a8, v22
	v_pk_add_f16 v2, v4, v2
	v_bfi_b32 v4, s28, v15, v53
	v_bfi_b32 v3, s28, v7, v3
	v_pk_add_f16 v3, v4, v3 neg_lo:[0,1] neg_hi:[0,1]
	v_bfi_b32 v4, s28, v23, v54
	v_bfi_b32 v5, s28, v19, v66
	v_mul_f16_e32 v22, 0x3b7b, v42
	v_pk_add_f16 v3, v3, v1 op_sel_hi:[1,0]
	v_pk_add_f16 v4, v4, v5 neg_lo:[0,1] neg_hi:[0,1]
	v_bfi_b32 v5, s28, v22, v67
	v_pk_add_f16 v3, v4, v3
	v_bfi_b32 v4, s28, v43, v55
	v_mul_f16_e32 v42, 0x3770, v45
	v_pk_add_f16 v4, v4, v5 neg_lo:[0,1] neg_hi:[0,1]
	v_bfi_b32 v5, s28, v42, v68
	v_pk_add_f16 v3, v4, v3
	v_bfi_b32 v4, s28, v46, v56
	v_mul_f16_e32 v44, 0xba95, v48
	;; [unrolled: 5-line block ×3, first 2 shown]
	v_pk_add_f16 v4, v4, v5 neg_lo:[0,1] neg_hi:[0,1]
	v_sub_f16_e32 v78, v64, v77
	v_pk_add_f16 v3, v4, v3
	v_bfi_b32 v4, s28, v52, v58
	v_bfi_b32 v5, s28, v45, v70
	v_add_f16_e32 v72, v78, v72
	v_pk_add_f16 v4, v4, v5 neg_lo:[0,1] neg_hi:[0,1]
	v_lshl_add_u32 v7, v18, 1, v65
	v_pk_add_f16 v4, v4, v3
	v_alignbit_b32 v3, v72, v2, 16
	v_pack_b32_f16 v2, v50, v2
	s_movk_i32 s0, 0xffe8
	s_load_dwordx2 s[4:5], s[2:3], 0x0
	ds_write_b96 v0, v[2:4] offset:12
	ds_write_b16 v0, v24 offset:24
	s_waitcnt lgkmcnt(0)
	s_barrier
	v_mad_i32_i24 v3, v18, s0, v0
	ds_read_u16 v42, v7
	ds_read_u16 v43, v3 offset:136
	ds_read_u16 v15, v3 offset:1020
	;; [unrolled: 1-line block ×11, first 2 shown]
	s_movk_i32 s29, 0x2fb7
	s_mov_b32 s33, 0xbbc4
	s_movk_i32 s30, 0x3b15
	s_mov_b32 s34, 0xb5ac
	s_mov_b32 s31, 0xb9fd
	s_movk_i32 s35, 0x388b
	v_cmp_gt_u32_e64 s[0:1], 17, v18
                                        ; implicit-def: $vgpr50
                                        ; implicit-def: $vgpr23
                                        ; implicit-def: $vgpr51
	s_and_saveexec_b64 s[2:3], s[0:1]
	s_cbranch_execz .LBB0_14
; %bb.13:
	ds_read_u16 v24, v3 offset:408
	ds_read_u16 v50, v3 offset:850
	;; [unrolled: 1-line block ×4, first 2 shown]
.LBB0_14:
	s_or_b64 exec, exec, s[2:3]
	v_add_f16_sdwa v2, v36, v1 dst_sel:DWORD dst_unused:UNUSED_PAD src0_sel:DWORD src1_sel:WORD_1
	v_add_f16_e32 v2, v34, v2
	v_add_f16_e32 v2, v32, v2
	;; [unrolled: 1-line block ×7, first 2 shown]
	v_sub_f16_e32 v5, v14, v39
	v_add_f16_e32 v2, v35, v2
	v_add_f16_e32 v4, v36, v41
	v_mul_f16_e32 v53, 0xb3a8, v5
	v_sub_f16_e32 v13, v13, v37
	v_add_f16_e32 v2, v38, v2
	v_mul_f16_e32 v36, 0xbbf1, v5
	v_fma_f16 v54, v4, s33, -v53
	v_add_f16_e32 v34, v34, v40
	v_mul_f16_e32 v56, 0x3770, v13
	v_sub_f16_e32 v12, v12, v33
	v_add_f16_e32 v2, v40, v2
	v_fma_f16 v39, v4, s29, -v36
	v_add_f16_sdwa v54, v54, v1 dst_sel:DWORD dst_unused:UNUSED_PAD src0_sel:DWORD src1_sel:WORD_1
	v_mul_f16_e32 v40, 0xb3a8, v13
	v_fma_f16 v57, v34, s30, -v56
	v_add_f16_e32 v32, v32, v38
	v_mul_f16_e32 v58, 0xb94e, v12
	v_sub_f16_e32 v10, v10, v28
	v_add_f16_sdwa v39, v39, v1 dst_sel:DWORD dst_unused:UNUSED_PAD src0_sel:DWORD src1_sel:WORD_1
	v_fma_f16 v55, v34, s33, -v40
	v_add_f16_e32 v54, v57, v54
	v_mul_f16_e32 v38, 0x3b7b, v12
	v_fma_f16 v59, v32, s31, -v58
	v_add_f16_e32 v30, v30, v35
	v_mul_f16_e32 v60, 0x3a95, v10
	v_add_f16_e32 v39, v55, v39
	v_fma_f16 v57, v32, s34, -v38
	v_add_f16_e32 v54, v59, v54
	v_mul_f16_e32 v35, 0x3770, v10
	v_fma_f16 v61, v30, s35, -v60
	v_sub_f16_e32 v8, v8, v25
	v_add_f16_e32 v39, v57, v39
	v_fma_f16 v59, v30, s30, -v35
	v_add_f16_e32 v54, v61, v54
	v_add_f16_e32 v29, v29, v31
	v_mul_f16_e32 v61, 0xba95, v8
	v_add_f16_e32 v39, v59, v39
	v_fma_f16 v25, v29, s35, -v61
	v_mul_f16_e32 v63, 0xbb7b, v8
	v_add_f16_e32 v39, v25, v39
	v_fma_f16 v25, v29, s34, -v63
	v_add_f16_e32 v26, v26, v27
	v_sub_f16_e32 v9, v6, v9
	v_pk_mul_f16 v6, v4, s11 op_sel_hi:[0,1]
	v_pk_mul_f16 v27, v5, s22 op_sel_hi:[0,1]
	v_add_f16_e32 v54, v25, v54
	v_add_f16_e32 v25, v6, v27
	v_pk_mul_f16 v65, v34, s10 op_sel_hi:[0,1]
	v_pk_mul_f16 v66, v13, s23 op_sel_hi:[0,1]
	v_add_f16_sdwa v25, v25, v1 dst_sel:DWORD dst_unused:UNUSED_PAD src0_sel:DWORD src1_sel:WORD_1
	v_pk_fma_f16 v64, v4, s11, v27 op_sel_hi:[0,1,1] neg_lo:[0,0,1] neg_hi:[0,0,1]
	v_add_f16_e32 v67, v65, v66
	v_pk_add_f16 v64, v64, v1 op_sel:[0,1]
	v_add_f16_e32 v25, v67, v25
	v_pk_fma_f16 v67, v34, s10, v66 op_sel_hi:[0,1,1] neg_lo:[0,0,1] neg_hi:[0,0,1]
	v_pk_add_f16 v64, v67, v64
	v_pk_mul_f16 v67, v32, s12 op_sel_hi:[0,1]
	v_pk_mul_f16 v68, v12, s24 op_sel_hi:[0,1]
	v_add_f16_e32 v69, v67, v68
	v_mul_f16_e32 v14, 0x2fb7, v4
	v_add_f16_e32 v25, v69, v25
	v_pk_fma_f16 v69, v32, s12, v68 op_sel_hi:[0,1,1] neg_lo:[0,0,1] neg_hi:[0,0,1]
	v_mul_f16_e32 v37, 0xbbc4, v34
	v_pk_add_f16 v64, v69, v64
	v_pk_mul_f16 v69, v30, s14 op_sel_hi:[0,1]
	v_pk_mul_f16 v70, v10, s25 op_sel_hi:[0,1]
	v_bfi_b32 v6, s28, v14, v6
	v_bfi_b32 v14, s28, v36, v27
	v_add_f16_e32 v71, v69, v70
	v_pk_add_f16 v6, v6, v14
	v_bfi_b32 v14, s28, v37, v65
	v_bfi_b32 v27, s28, v40, v66
	v_mul_f16_e32 v33, 0xb5ac, v32
	v_add_f16_e32 v25, v71, v25
	v_pk_fma_f16 v71, v30, s14, v70 op_sel_hi:[0,1,1] neg_lo:[0,0,1] neg_hi:[0,0,1]
	v_pk_add_f16 v6, v6, v1 op_sel:[0,1]
	v_pk_add_f16 v14, v14, v27
	v_pk_add_f16 v64, v71, v64
	v_pk_mul_f16 v71, v29, s15 op_sel_hi:[0,1]
	v_pk_mul_f16 v72, v8, s26 op_sel_hi:[0,1]
	v_pk_add_f16 v6, v14, v6
	v_bfi_b32 v14, s28, v33, v67
	v_bfi_b32 v27, s28, v38, v68
	v_mul_f16_e32 v28, 0x3b15, v30
	v_add_f16_e32 v73, v71, v72
	v_pk_add_f16 v14, v14, v27
	v_add_f16_e32 v25, v73, v25
	v_pk_fma_f16 v73, v29, s15, v72 op_sel_hi:[0,1,1] neg_lo:[0,0,1] neg_hi:[0,0,1]
	v_pk_add_f16 v6, v14, v6
	v_bfi_b32 v14, s28, v28, v69
	v_bfi_b32 v27, s28, v35, v70
	v_mul_f16_e32 v31, 0x388b, v29
	v_pk_add_f16 v64, v73, v64
	v_pk_mul_f16 v73, v26, s13 op_sel_hi:[0,1]
	v_pk_mul_f16 v74, v9, s27 op_sel_hi:[0,1]
	v_pk_add_f16 v14, v14, v27
	v_pk_fma_f16 v75, v26, s13, v74 op_sel_hi:[0,1,1] neg_lo:[0,0,1] neg_hi:[0,0,1]
	v_add_f16_e32 v76, v73, v74
	v_pk_add_f16 v6, v14, v6
	v_bfi_b32 v14, s28, v31, v71
	v_bfi_b32 v27, s28, v61, v72
	v_add_f16_e32 v25, v76, v25
	v_pk_add_f16 v64, v75, v64
	v_mul_f16_e32 v75, 0xb9fd, v26
	v_mul_f16_e32 v76, 0xb94e, v9
	v_pk_add_f16 v14, v14, v27
	v_bfi_b32 v27, s28, v76, v74
	v_pk_add_f16 v6, v14, v6
	v_bfi_b32 v14, s28, v75, v73
	v_pk_add_f16 v14, v14, v27
	v_pk_mul_f16 v5, v5, s16 op_sel_hi:[0,1]
	v_pk_add_f16 v6, v14, v6
	v_pk_mul_f16 v14, v4, s14 op_sel_hi:[0,1]
	v_add_f16_e32 v27, v14, v5
	v_pk_mul_f16 v28, v34, s15 op_sel_hi:[0,1]
	v_pk_mul_f16 v13, v13, s17 op_sel_hi:[0,1]
	v_add_f16_e32 v2, v41, v2
	v_mul_f16_e32 v41, 0xbbc4, v4
	v_add_f16_sdwa v27, v27, v1 dst_sel:DWORD dst_unused:UNUSED_PAD src0_sel:DWORD src1_sel:WORD_1
	v_pk_fma_f16 v4, v4, s14, v5 op_sel_hi:[0,1,1] neg_lo:[0,0,1] neg_hi:[0,0,1]
	v_add_f16_e32 v31, v28, v13
	v_pk_add_f16 v4, v4, v1 op_sel:[0,1]
	v_add_f16_e32 v27, v31, v27
	v_pk_fma_f16 v31, v34, s15, v13 op_sel_hi:[0,1,1] neg_lo:[0,0,1] neg_hi:[0,0,1]
	v_pk_add_f16 v4, v31, v4
	v_pk_mul_f16 v31, v32, s11 op_sel_hi:[0,1]
	v_pk_mul_f16 v12, v12, s18 op_sel_hi:[0,1]
	v_bfi_b32 v14, s28, v41, v14
	v_bfi_b32 v5, s28, v53, v5
	v_mul_f16_e32 v55, 0x3b15, v34
	v_mul_f16_e32 v57, 0xb9fd, v32
	v_add_f16_e32 v33, v31, v12
	v_pk_fma_f16 v32, v32, s11, v12 op_sel_hi:[0,1,1] neg_lo:[0,0,1] neg_hi:[0,0,1]
	v_pk_add_f16 v5, v14, v5
	v_add_f16_e32 v27, v33, v27
	v_pk_add_f16 v4, v32, v4
	v_pk_mul_f16 v32, v30, s12 op_sel_hi:[0,1]
	v_pk_mul_f16 v33, v10, s19 op_sel_hi:[0,1]
	v_pk_add_f16 v1, v5, v1 op_sel:[0,1]
	v_bfi_b32 v5, s28, v55, v28
	v_bfi_b32 v13, s28, v56, v13
	v_add_f16_e32 v10, v32, v33
	v_pk_add_f16 v5, v5, v13
	v_add_f16_e32 v10, v10, v27
	v_pk_fma_f16 v27, v30, s12, v33 op_sel_hi:[0,1,1] neg_lo:[0,0,1] neg_hi:[0,0,1]
	v_pk_add_f16 v1, v5, v1
	v_bfi_b32 v5, s28, v57, v31
	v_bfi_b32 v12, s28, v58, v12
	v_mul_f16_e32 v59, 0x388b, v30
	v_pk_add_f16 v4, v27, v4
	v_pk_mul_f16 v27, v29, s13 op_sel_hi:[0,1]
	v_pk_mul_f16 v8, v8, s20 op_sel_hi:[0,1]
	v_pk_add_f16 v5, v5, v12
	v_mul_f16_e32 v62, 0xb5ac, v29
	v_add_f16_e32 v30, v27, v8
	v_pk_fma_f16 v29, v29, s13, v8 op_sel_hi:[0,1,1] neg_lo:[0,0,1] neg_hi:[0,0,1]
	v_pk_add_f16 v1, v5, v1
	v_bfi_b32 v5, s28, v59, v32
	v_bfi_b32 v12, s28, v60, v33
	v_add_f16_e32 v10, v30, v10
	v_pk_add_f16 v4, v29, v4
	v_pk_mul_f16 v29, v26, s10 op_sel_hi:[0,1]
	v_pk_mul_f16 v30, v9, s21 op_sel_hi:[0,1]
	v_pk_add_f16 v5, v5, v12
	v_pk_fma_f16 v34, v26, s10, v30 op_sel_hi:[0,1,1] neg_lo:[0,0,1] neg_hi:[0,0,1]
	v_add_f16_e32 v35, v29, v30
	v_pk_add_f16 v1, v5, v1
	v_bfi_b32 v5, s28, v62, v27
	v_bfi_b32 v8, s28, v63, v8
	v_add_f16_e32 v35, v35, v10
	v_pk_add_f16 v10, v34, v4
	v_mul_f16_e32 v4, 0x2fb7, v26
	v_mul_f16_e32 v9, 0x3bf1, v9
	v_pk_add_f16 v5, v5, v8
	v_bfi_b32 v4, s28, v4, v29
	v_pk_add_f16 v1, v5, v1
	v_bfi_b32 v5, s28, v9, v30
	v_fma_f16 v77, v26, s31, -v76
	v_fma_f16 v26, v26, s29, -v9
	v_pk_add_f16 v4, v4, v5
	v_add_f16_e32 v39, v77, v39
	v_add_f16_e32 v26, v26, v54
	v_pk_add_f16 v1, v4, v1
	v_alignbit_b32 v9, v39, v64, 16
	v_pack_b32_f16 v8, v2, v64
	v_alignbit_b32 v5, v35, v1, 16
	v_pack_b32_f16 v4, v26, v1
	s_waitcnt lgkmcnt(0)
	s_barrier
	ds_write_b96 v0, v[8:10]
	ds_write_b96 v0, v[4:6] offset:12
	ds_write_b16 v0, v25 offset:24
	s_waitcnt lgkmcnt(0)
	s_barrier
	ds_read_u16 v35, v7
	ds_read_u16 v32, v3 offset:136
	ds_read_u16 v26, v3 offset:578
	;; [unrolled: 1-line block ×11, first 2 shown]
                                        ; implicit-def: $vgpr31
                                        ; implicit-def: $vgpr39
                                        ; implicit-def: $vgpr33
	s_and_saveexec_b64 s[2:3], s[0:1]
	s_cbranch_execz .LBB0_16
; %bb.15:
	ds_read_u16 v25, v3 offset:408
	ds_read_u16 v31, v3 offset:850
	;; [unrolled: 1-line block ×4, first 2 shown]
.LBB0_16:
	s_or_b64 exec, exec, s[2:3]
	s_movk_i32 s10, 0x4f
	v_mul_lo_u16_sdwa v0, v18, s10 dst_sel:DWORD dst_unused:UNUSED_PAD src0_sel:BYTE_0 src1_sel:DWORD
	v_lshrrev_b16_e32 v55, 10, v0
	v_mul_lo_u16_e32 v0, 13, v55
	v_sub_u16_e32 v56, v18, v0
	v_mov_b32_e32 v8, 3
	v_mul_u32_u24_sdwa v0, v56, v8 dst_sel:DWORD dst_unused:UNUSED_PAD src0_sel:BYTE_0 src1_sel:DWORD
	v_lshlrev_b32_e32 v9, 2, v0
	v_add_u16_e32 v0, 0x44, v18
	v_mul_lo_u16_sdwa v1, v0, s10 dst_sel:DWORD dst_unused:UNUSED_PAD src0_sel:BYTE_0 src1_sel:DWORD
	v_lshrrev_b16_e32 v57, 10, v1
	v_mul_lo_u16_e32 v1, 13, v57
	v_sub_u16_e32 v58, v0, v1
	v_mul_u32_u24_sdwa v0, v58, v8 dst_sel:DWORD dst_unused:UNUSED_PAD src0_sel:BYTE_0 src1_sel:DWORD
	v_lshlrev_b32_e32 v10, 2, v0
	global_load_dwordx3 v[4:6], v9, s[8:9]
	global_load_dwordx3 v[0:2], v10, s[8:9]
	v_add_u16_e32 v9, 0x88, v18
	v_mul_lo_u16_sdwa v10, v9, s10 dst_sel:DWORD dst_unused:UNUSED_PAD src0_sel:BYTE_0 src1_sel:DWORD
	v_lshrrev_b16_e32 v59, 10, v10
	v_add_u32_e32 v30, 0xcc, v18
	v_mul_lo_u16_e32 v10, 13, v59
	s_movk_i32 s2, 0x4ec5
	v_sub_u16_e32 v60, v9, v10
	v_mul_u32_u24_sdwa v9, v30, s2 dst_sel:DWORD dst_unused:UNUSED_PAD src0_sel:WORD_0 src1_sel:DWORD
	v_lshrrev_b32_e32 v12, 18, v9
	v_mul_u32_u24_sdwa v8, v60, v8 dst_sel:DWORD dst_unused:UNUSED_PAD src0_sel:BYTE_0 src1_sel:DWORD
	v_mul_lo_u16_e32 v12, 13, v12
	v_lshlrev_b32_e32 v8, 2, v8
	v_sub_u16_e32 v61, v30, v12
	global_load_dwordx3 v[8:10], v8, s[8:9]
	v_mul_u32_u24_e32 v12, 3, v61
	v_lshlrev_b32_e32 v12, 2, v12
	global_load_dwordx3 v[12:14], v12, s[8:9]
	s_movk_i32 s11, 0x68
	s_waitcnt lgkmcnt(0)
	s_barrier
	s_waitcnt vmcnt(3)
	v_mul_f16_sdwa v53, v40, v4 dst_sel:DWORD dst_unused:UNUSED_PAD src0_sel:DWORD src1_sel:WORD_1
	v_mul_f16_sdwa v54, v49, v4 dst_sel:DWORD dst_unused:UNUSED_PAD src0_sel:DWORD src1_sel:WORD_1
	;; [unrolled: 1-line block ×5, first 2 shown]
	s_waitcnt vmcnt(2)
	v_mul_f16_sdwa v68, v29, v2 dst_sel:DWORD dst_unused:UNUSED_PAD src0_sel:DWORD src1_sel:WORD_1
	v_mul_f16_sdwa v69, v48, v2 dst_sel:DWORD dst_unused:UNUSED_PAD src0_sel:DWORD src1_sel:WORD_1
	v_fma_f16 v53, v49, v4, v53
	v_fma_f16 v49, v40, v4, -v54
	v_fma_f16 v4, v19, v5, v62
	v_fma_f16 v40, v52, v6, v63
	v_mul_f16_sdwa v65, v26, v0 dst_sel:DWORD dst_unused:UNUSED_PAD src0_sel:DWORD src1_sel:WORD_1
	v_mul_f16_sdwa v66, v47, v0 dst_sel:DWORD dst_unused:UNUSED_PAD src0_sel:DWORD src1_sel:WORD_1
	v_mul_f16_sdwa v67, v36, v1 dst_sel:DWORD dst_unused:UNUSED_PAD src0_sel:DWORD src1_sel:WORD_1
	v_fma_f16 v6, v41, v6, -v64
	s_waitcnt vmcnt(1)
	v_mul_f16_sdwa v70, v27, v8 dst_sel:DWORD dst_unused:UNUSED_PAD src0_sel:DWORD src1_sel:WORD_1
	v_mul_f16_sdwa v71, v45, v8 dst_sel:DWORD dst_unused:UNUSED_PAD src0_sel:DWORD src1_sel:WORD_1
	;; [unrolled: 1-line block ×4, first 2 shown]
	v_fma_f16 v52, v48, v2, v68
	v_fma_f16 v29, v29, v2, -v69
	v_fma_f16 v54, v45, v8, v70
	v_fma_f16 v2, v27, v8, -v71
	v_fma_f16 v8, v22, v9, v72
	v_sub_f16_e32 v4, v42, v4
	v_sub_f16_e32 v45, v53, v40
	v_mul_f16_sdwa v74, v46, v10 dst_sel:DWORD dst_unused:UNUSED_PAD src0_sel:DWORD src1_sel:WORD_1
	s_waitcnt vmcnt(0)
	v_mul_f16_sdwa v75, v31, v12 dst_sel:DWORD dst_unused:UNUSED_PAD src0_sel:DWORD src1_sel:WORD_1
	v_mul_f16_sdwa v76, v50, v12 dst_sel:DWORD dst_unused:UNUSED_PAD src0_sel:DWORD src1_sel:WORD_1
	;; [unrolled: 1-line block ×5, first 2 shown]
	v_fma_f16 v41, v47, v0, v65
	v_fma_f16 v47, v26, v0, -v66
	v_fma_f16 v26, v15, v1, v67
	v_fma_f16 v62, v46, v10, v73
	v_sub_f16_e32 v48, v49, v6
	v_sub_f16_e32 v64, v44, v8
	v_fma_f16 v8, v42, 2.0, -v4
	v_fma_f16 v6, v53, 2.0, -v45
	v_fma_f16 v28, v28, v10, -v74
	v_fma_f16 v50, v50, v12, v75
	v_fma_f16 v0, v31, v12, -v76
	v_fma_f16 v31, v23, v13, v77
	v_fma_f16 v63, v51, v14, v78
	v_fma_f16 v33, v33, v14, -v79
	v_sub_f16_e32 v14, v43, v26
	v_sub_f16_e32 v46, v41, v52
	v_add_f16_e32 v10, v4, v48
	v_sub_f16_e32 v6, v8, v6
	v_sub_f16_e32 v52, v54, v62
	v_fma_f16 v26, v43, 2.0, -v14
	v_fma_f16 v12, v4, 2.0, -v10
	;; [unrolled: 1-line block ×4, first 2 shown]
	v_sub_f16_e32 v43, v2, v28
	v_fma_f16 v28, v54, 2.0, -v52
	v_sub_f16_e32 v31, v24, v31
	v_sub_f16_e32 v53, v50, v63
	v_mad_u32_u24 v44, v55, s11, 0
	v_mov_b32_e32 v55, 1
	v_fma_f16 v27, v41, 2.0, -v46
	v_sub_f16_e32 v41, v8, v28
	v_fma_f16 v28, v24, 2.0, -v31
	v_fma_f16 v24, v50, 2.0, -v53
	v_lshlrev_b32_sdwa v56, v55, v56 dst_sel:DWORD dst_unused:UNUSED_PAD src0_sel:DWORD src1_sel:BYTE_0
	v_lshlrev_b32_e32 v50, 1, v11
	v_sub_f16_e32 v51, v47, v29
	v_sub_f16_e32 v54, v0, v33
	v_add3_u32 v56, v44, v56, v50
	v_mad_u32_u24 v11, v57, s11, 0
	v_lshlrev_b32_sdwa v44, v55, v58 dst_sel:DWORD dst_unused:UNUSED_PAD src0_sel:DWORD src1_sel:BYTE_0
	v_add_f16_e32 v40, v14, v51
	v_sub_f16_e32 v27, v26, v27
	v_add_f16_e32 v29, v64, v43
	v_sub_f16_e32 v24, v28, v24
	v_add_f16_e32 v33, v31, v54
	v_add3_u32 v57, v11, v44, v50
	v_mad_u32_u24 v11, v59, s11, 0
	v_lshlrev_b32_sdwa v44, v55, v60 dst_sel:DWORD dst_unused:UNUSED_PAD src0_sel:DWORD src1_sel:BYTE_0
	v_fma_f16 v14, v14, 2.0, -v40
	v_fma_f16 v26, v26, 2.0, -v27
	;; [unrolled: 1-line block ×6, first 2 shown]
	v_add3_u32 v58, v11, v44, v50
	v_lshlrev_b32_e32 v55, 1, v61
	ds_write_b16 v56, v4
	ds_write_b16 v56, v12 offset:26
	ds_write_b16 v56, v6 offset:52
	ds_write_b16 v56, v10 offset:78
	ds_write_b16 v57, v26
	ds_write_b16 v57, v14 offset:26
	ds_write_b16 v57, v27 offset:52
	ds_write_b16 v57, v40 offset:78
	ds_write_b16 v58, v8
	ds_write_b16 v58, v42 offset:26
	ds_write_b16 v58, v41 offset:52
	ds_write_b16 v58, v29 offset:78
	s_and_saveexec_b64 s[2:3], s[0:1]
	s_cbranch_execz .LBB0_18
; %bb.17:
	v_mul_lo_u16_sdwa v11, v30, s10 dst_sel:DWORD dst_unused:UNUSED_PAD src0_sel:BYTE_0 src1_sel:DWORD
	v_lshrrev_b16_e32 v11, 10, v11
	v_mad_u32_u24 v11, v11, s11, 0
	v_add3_u32 v11, v11, v55, v50
	ds_write_b16 v11, v28
	ds_write_b16 v11, v31 offset:26
	ds_write_b16 v11, v24 offset:52
	;; [unrolled: 1-line block ×3, first 2 shown]
.LBB0_18:
	s_or_b64 exec, exec, s[2:3]
	v_cmp_gt_u32_e64 s[2:3], 52, v18
	s_waitcnt lgkmcnt(0)
	s_barrier
	s_waitcnt lgkmcnt(0)
                                        ; implicit-def: $vgpr11
	s_and_saveexec_b64 s[10:11], s[2:3]
	s_cbranch_execz .LBB0_20
; %bb.19:
	ds_read_u16 v4, v7
	ds_read_u16 v12, v3 offset:104
	ds_read_u16 v6, v3 offset:208
	;; [unrolled: 1-line block ×16, first 2 shown]
.LBB0_20:
	s_or_b64 exec, exec, s[10:11]
	v_mul_f16_sdwa v15, v15, v1 dst_sel:DWORD dst_unused:UNUSED_PAD src0_sel:DWORD src1_sel:WORD_1
	v_mul_f16_sdwa v19, v19, v5 dst_sel:DWORD dst_unused:UNUSED_PAD src0_sel:DWORD src1_sel:WORD_1
	v_fma_f16 v1, v36, v1, -v15
	v_mul_f16_sdwa v15, v22, v9 dst_sel:DWORD dst_unused:UNUSED_PAD src0_sel:DWORD src1_sel:WORD_1
	v_fma_f16 v5, v37, v5, -v19
	v_fma_f16 v9, v38, v9, -v15
	v_mul_f16_sdwa v15, v23, v13 dst_sel:DWORD dst_unused:UNUSED_PAD src0_sel:DWORD src1_sel:WORD_1
	v_fma_f16 v36, v39, v13, -v15
	v_sub_f16_e32 v13, v35, v5
	v_fma_f16 v5, v35, 2.0, -v13
	v_fma_f16 v15, v49, 2.0, -v48
	v_sub_f16_e32 v1, v32, v1
	v_sub_f16_e32 v22, v5, v15
	v_fma_f16 v23, v32, 2.0, -v1
	v_fma_f16 v15, v47, 2.0, -v51
	v_sub_f16_e32 v19, v13, v45
	v_sub_f16_e32 v15, v23, v15
	;; [unrolled: 1-line block ×3, first 2 shown]
	v_fma_f16 v35, v23, 2.0, -v15
	v_fma_f16 v23, v1, 2.0, -v45
	v_sub_f16_e32 v1, v34, v9
	v_sub_f16_e32 v47, v1, v52
	v_fma_f16 v9, v34, 2.0, -v1
	v_fma_f16 v2, v2, 2.0, -v43
	;; [unrolled: 1-line block ×3, first 2 shown]
	v_sub_f16_e32 v1, v25, v36
	v_sub_f16_e32 v43, v9, v2
	v_fma_f16 v2, v25, 2.0, -v1
	v_fma_f16 v0, v0, 2.0, -v54
	v_sub_f16_e32 v36, v2, v0
	v_sub_f16_e32 v25, v1, v53
	v_fma_f16 v5, v5, 2.0, -v22
	v_fma_f16 v13, v13, 2.0, -v19
	;; [unrolled: 1-line block ×5, first 2 shown]
	s_waitcnt lgkmcnt(0)
	s_barrier
	ds_write_b16 v56, v5
	ds_write_b16 v56, v13 offset:26
	ds_write_b16 v56, v22 offset:52
	ds_write_b16 v56, v19 offset:78
	ds_write_b16 v57, v35
	ds_write_b16 v57, v23 offset:26
	ds_write_b16 v57, v15 offset:52
	ds_write_b16 v57, v45 offset:78
	;; [unrolled: 4-line block ×3, first 2 shown]
	s_and_saveexec_b64 s[10:11], s[0:1]
	s_cbranch_execz .LBB0_22
; %bb.21:
	s_movk_i32 s0, 0x4f
	v_mul_lo_u16_sdwa v0, v30, s0 dst_sel:DWORD dst_unused:UNUSED_PAD src0_sel:BYTE_0 src1_sel:DWORD
	v_lshrrev_b16_e32 v0, 10, v0
	s_movk_i32 s0, 0x68
	v_mad_u32_u24 v0, v0, s0, 0
	v_add3_u32 v0, v0, v55, v50
	ds_write_b16 v0, v37
	ds_write_b16 v0, v34 offset:26
	ds_write_b16 v0, v36 offset:52
	;; [unrolled: 1-line block ×3, first 2 shown]
.LBB0_22:
	s_or_b64 exec, exec, s[10:11]
	s_waitcnt lgkmcnt(0)
	s_barrier
	s_waitcnt lgkmcnt(0)
                                        ; implicit-def: $vgpr32
	s_and_saveexec_b64 s[0:1], s[2:3]
	s_cbranch_execz .LBB0_24
; %bb.23:
	ds_read_u16 v5, v7
	ds_read_u16 v13, v3 offset:104
	ds_read_u16 v22, v3 offset:208
	;; [unrolled: 1-line block ×16, first 2 shown]
.LBB0_24:
	s_or_b64 exec, exec, s[0:1]
	v_cmp_gt_u32_e64 s[0:1], 52, v18
	s_and_b64 s[0:1], vcc, s[0:1]
	s_and_saveexec_b64 s[10:11], s[0:1]
	s_cbranch_execz .LBB0_26
; %bb.25:
	v_lshlrev_b32_e32 v0, 4, v18
	v_add_u32_e32 v1, 0xfffffcc0, v0
	v_cndmask_b32_e64 v0, v1, v0, s[2:3]
	v_mov_b32_e32 v1, 0
	v_lshl_add_u64 v[2:3], v[0:1], 2, s[8:9]
	global_load_dwordx4 v[48:51], v[2:3], off offset:156
	global_load_dwordx4 v[52:55], v[2:3], off offset:204
	;; [unrolled: 1-line block ×4, first 2 shown]
	v_mul_lo_u32 v0, s5, v20
	v_mul_lo_u32 v7, s4, v21
	v_mad_u64_u32 v[2:3], s[0:1], s4, v20, 0
	v_add3_u32 v3, v3, v7, v0
	s_movk_i32 s3, 0x39e9
	s_movk_i32 s2, 0x2de8
	s_mov_b32 s1, 0xb8d2
	s_mov_b32 s0, 0xbbdd
	;; [unrolled: 1-line block ×4, first 2 shown]
	s_movk_i32 s8, 0x3722
	s_movk_i32 s9, 0x3b76
	;; [unrolled: 1-line block ×4, first 2 shown]
	s_mov_b32 s15, 0xb5c8
	s_mov_b32 s14, 0xbb29
	;; [unrolled: 1-line block ×6, first 2 shown]
	s_waitcnt vmcnt(3) lgkmcnt(14)
	v_mul_f16_sdwa v0, v13, v48 dst_sel:DWORD dst_unused:UNUSED_PAD src0_sel:DWORD src1_sel:WORD_1
	s_waitcnt vmcnt(2) lgkmcnt(0)
	v_mul_f16_sdwa v7, v32, v55 dst_sel:DWORD dst_unused:UNUSED_PAD src0_sel:DWORD src1_sel:WORD_1
	v_mul_f16_sdwa v20, v11, v55 dst_sel:DWORD dst_unused:UNUSED_PAD src0_sel:DWORD src1_sel:WORD_1
	;; [unrolled: 1-line block ×5, first 2 shown]
	s_waitcnt vmcnt(1)
	v_mul_f16_sdwa v74, v23, v64 dst_sel:DWORD dst_unused:UNUSED_PAD src0_sel:DWORD src1_sel:WORD_1
	s_waitcnt vmcnt(0)
	v_mul_f16_sdwa v76, v28, v59 dst_sel:DWORD dst_unused:UNUSED_PAD src0_sel:DWORD src1_sel:WORD_1
	v_mul_f16_sdwa v79, v47, v58 dst_sel:DWORD dst_unused:UNUSED_PAD src0_sel:DWORD src1_sel:WORD_1
	;; [unrolled: 1-line block ×3, first 2 shown]
	v_fma_f16 v30, v12, v48, v0
	v_fma_f16 v9, v11, v55, v7
	v_mul_f16_sdwa v60, v33, v54 dst_sel:DWORD dst_unused:UNUSED_PAD src0_sel:DWORD src1_sel:WORD_1
	v_mul_f16_sdwa v61, v6, v49 dst_sel:DWORD dst_unused:UNUSED_PAD src0_sel:DWORD src1_sel:WORD_1
	;; [unrolled: 1-line block ×10, first 2 shown]
	v_fma_f16 v0, v32, v55, -v20
	v_fma_f16 v11, v13, v48, -v21
	v_fma_f16 v32, v6, v49, v38
	v_fma_f16 v13, v33, v54, v39
	;; [unrolled: 1-line block ×3, first 2 shown]
	v_fma_f16 v14, v37, v59, -v76
	v_fma_f16 v37, v29, v58, v79
	v_fma_f16 v29, v15, v65, -v81
	v_sub_f16_e32 v15, v30, v9
	v_mul_f16_sdwa v68, v24, v53 dst_sel:DWORD dst_unused:UNUSED_PAD src0_sel:DWORD src1_sel:WORD_1
	v_mul_f16_sdwa v70, v35, v51 dst_sel:DWORD dst_unused:UNUSED_PAD src0_sel:DWORD src1_sel:WORD_1
	;; [unrolled: 1-line block ×4, first 2 shown]
	v_fma_f16 v6, v25, v54, -v60
	v_fma_f16 v12, v22, v49, -v61
	v_fma_f16 v33, v10, v50, v62
	v_fma_f16 v25, v24, v53, v63
	v_fma_f16 v24, v19, v50, -v69
	v_fma_f16 v10, v34, v52, -v72
	v_fma_f16 v34, v28, v59, v75
	v_fma_f16 v28, v23, v64, -v77
	v_add_f16_e32 v64, v11, v0
	v_sub_f16_e32 v19, v32, v13
	v_mul_f16_e32 v81, 0xb964, v15
	v_fma_f16 v7, v36, v53, -v68
	v_fma_f16 v36, v26, v51, v70
	v_fma_f16 v31, v31, v52, v71
	v_fma_f16 v26, v35, v51, -v73
	v_add_f16_e32 v63, v12, v6
	v_sub_f16_e32 v20, v33, v25
	v_mul_f16_e32 v79, 0xbbf7, v19
	v_fma_f16 v35, v64, s3, v81
	v_fma_f16 v39, v27, v65, v78
	v_fma_f16 v27, v47, v58, -v80
	v_add_f16_e32 v62, v24, v7
	v_sub_f16_e32 v21, v36, v31
	v_mul_f16_e32 v78, 0xba62, v20
	v_fma_f16 v47, v63, s2, v79
	v_add_f16_e32 v35, v5, v35
	v_add_f16_e32 v61, v26, v10
	v_sub_f16_e32 v22, v38, v34
	v_mul_f16_e32 v76, 0xb1e1, v21
	v_fma_f16 v48, v62, s1, v78
	v_add_f16_e32 v35, v35, v47
	;; [unrolled: 5-line block ×3, first 2 shown]
	v_mul_f16_e32 v73, 0x3bb2, v23
	v_fma_f16 v50, v59, s4, v75
	v_add_f16_e32 v35, v35, v49
	v_add_f16_e32 v65, v29, v27
	v_add_f16_e32 v35, v35, v50
	v_fma_f16 v47, v65, s5, v73
	v_add_f16_e32 v47, v35, v47
	v_mul_f16_sdwa v35, v45, v66 dst_sel:DWORD dst_unused:UNUSED_PAD src0_sel:DWORD src1_sel:WORD_1
	v_fma_f16 v55, v40, v66, v35
	v_mul_f16_sdwa v35, v43, v57 dst_sel:DWORD dst_unused:UNUSED_PAD src0_sel:DWORD src1_sel:WORD_1
	v_fma_f16 v53, v41, v57, v35
	v_mul_f16_sdwa v41, v41, v57 dst_sel:DWORD dst_unused:UNUSED_PAD src0_sel:DWORD src1_sel:WORD_1
	v_fma_f16 v43, v43, v57, -v41
	v_mul_f16_sdwa v41, v44, v67 dst_sel:DWORD dst_unused:UNUSED_PAD src0_sel:DWORD src1_sel:WORD_1
	v_mul_f16_sdwa v40, v40, v66 dst_sel:DWORD dst_unused:UNUSED_PAD src0_sel:DWORD src1_sel:WORD_1
	v_fma_f16 v57, v8, v67, v41
	v_mul_f16_sdwa v41, v46, v56 dst_sel:DWORD dst_unused:UNUSED_PAD src0_sel:DWORD src1_sel:WORD_1
	v_sub_f16_e32 v35, v55, v53
	v_fma_f16 v45, v45, v66, -v40
	v_fma_f16 v58, v42, v56, v41
	v_mul_f16_sdwa v42, v42, v56 dst_sel:DWORD dst_unused:UNUSED_PAD src0_sel:DWORD src1_sel:WORD_1
	v_mul_f16_sdwa v8, v8, v67 dst_sel:DWORD dst_unused:UNUSED_PAD src0_sel:DWORD src1_sel:WORD_1
	v_mul_f16_e32 v84, 0x3b29, v35
	v_add_f16_e32 v66, v45, v43
	v_sub_f16_e32 v41, v57, v58
	v_fma_f16 v50, v46, v56, -v42
	v_fma_f16 v54, v44, v67, -v8
	v_fma_f16 v40, v66, s8, v84
	v_mul_f16_e32 v85, 0x35c8, v41
	v_add_f16_e32 v68, v54, v50
	v_sub_f16_e32 v69, v11, v0
	v_add_f16_e32 v40, v47, v40
	v_fma_f16 v8, v68, s9, v85
	v_add_f16_e32 v42, v30, v9
	v_mul_f16_e32 v87, 0xb964, v69
	v_sub_f16_e32 v70, v12, v6
	v_add_f16_e32 v8, v40, v8
	v_fma_f16 v40, v42, s3, -v87
	v_add_f16_e32 v44, v32, v13
	v_mul_f16_e32 v88, 0xbbf7, v70
	v_add_f16_e32 v40, v4, v40
	v_fma_f16 v46, v44, s2, -v88
	v_sub_f16_e32 v71, v24, v7
	v_add_f16_e32 v40, v40, v46
	v_add_f16_e32 v46, v33, v25
	v_mul_f16_e32 v89, 0xba62, v71
	v_fma_f16 v47, v46, s1, -v89
	v_sub_f16_e32 v72, v26, v10
	v_add_f16_e32 v40, v40, v47
	v_add_f16_e32 v47, v36, v31
	v_mul_f16_e32 v90, 0xb1e1, v72
	;; [unrolled: 5-line block ×5, first 2 shown]
	v_sub_f16_e32 v83, v54, v50
	v_fma_f16 v52, v51, s8, -v94
	v_add_f16_e32 v56, v57, v58
	v_mul_f16_e32 v95, 0x35c8, v83
	v_add_f16_e32 v40, v40, v52
	v_fma_f16 v52, v56, s9, -v95
	v_mul_f16_e32 v96, 0xbb29, v15
	v_add_f16_e32 v40, v40, v52
	v_fma_f16 v52, v64, s8, v96
	v_mul_f16_e32 v97, 0xba62, v19
	v_add_f16_e32 v52, v5, v52
	v_fma_f16 v60, v63, s1, v97
	;; [unrolled: 3-line block ×8, first 2 shown]
	v_mul_f16_e32 v104, 0xbb29, v69
	v_add_f16_e32 v52, v52, v60
	v_fma_f16 v60, v42, s8, -v104
	v_mul_f16_e32 v105, 0xba62, v70
	v_add_f16_e32 v60, v4, v60
	v_fma_f16 v67, v44, s1, -v105
	;; [unrolled: 3-line block ×8, first 2 shown]
	v_mul_f16_e32 v112, 0xbbf7, v15
	v_add_f16_e32 v60, v60, v67
	v_fma_f16 v67, v64, s2, v112
	v_mul_f16_e32 v113, 0xb1e1, v19
	v_add_f16_e32 v67, v5, v67
	v_fma_f16 v82, v63, s0, v113
	;; [unrolled: 3-line block ×8, first 2 shown]
	v_mul_f16_e32 v120, 0xbbf7, v69
	v_add_f16_e32 v67, v67, v82
	v_fma_f16 v82, v42, s2, -v120
	v_mul_f16_e32 v121, 0xb1e1, v70
	v_add_f16_e32 v82, v4, v82
	v_fma_f16 v86, v44, s0, -v121
	;; [unrolled: 3-line block ×8, first 2 shown]
	v_mul_f16_e32 v128, 0xbbb2, v15
	v_add_f16_e32 v82, v82, v86
	v_fma_f16 v86, v64, s5, v128
	v_mul_f16_e32 v129, 0x3836, v19
	v_add_f16_e32 v86, v5, v86
	v_fma_f16 v93, v63, s4, v129
	;; [unrolled: 3-line block ×8, first 2 shown]
	v_mul_f16_e32 v136, 0xbbb2, v69
	v_add_f16_e32 v86, v86, v93
	v_fma_f16 v93, v42, s5, -v136
	v_mul_f16_e32 v137, 0x3836, v70
	v_add_f16_e32 v93, v4, v93
	v_fma_f16 v138, v44, s4, -v137
	v_add_f16_e32 v93, v93, v138
	v_mul_f16_e32 v138, 0x3964, v71
	v_fma_f16 v139, v46, s3, -v138
	v_add_f16_e32 v93, v93, v139
	v_mul_f16_e32 v139, 0xbb29, v72
	;; [unrolled: 3-line block ×7, first 2 shown]
	v_fma_f16 v145, v64, s1, v144
	v_mul_f16_e32 v146, 0x3bb2, v19
	v_add_f16_e32 v145, v5, v145
	v_fma_f16 v147, v63, s5, v146
	v_add_f16_e32 v145, v145, v147
	v_mul_f16_e32 v147, 0xb5c8, v20
	v_fma_f16 v148, v62, s9, v147
	v_add_f16_e32 v145, v145, v148
	v_mul_f16_e32 v148, 0xb836, v21
	;; [unrolled: 3-line block ×7, first 2 shown]
	v_fma_f16 v154, v42, s1, -v153
	v_mul_f16_e32 v155, 0x3bb2, v70
	v_add_f16_e32 v154, v4, v154
	v_fma_f16 v156, v44, s5, -v155
	v_add_f16_e32 v154, v154, v156
	v_mul_f16_e32 v156, 0xb5c8, v71
	v_fma_f16 v157, v46, s9, -v156
	v_add_f16_e32 v154, v154, v157
	v_mul_f16_e32 v157, 0xb836, v72
	v_fma_f16 v158, v47, s4, -v157
	v_add_f16_e32 v154, v154, v158
	v_mul_f16_e32 v158, 0x3bf7, v74
	v_fma_f16 v159, v48, s2, -v158
	v_add_f16_e32 v154, v154, v159
	v_mul_f16_e32 v159, 0xb964, v77
	v_fma_f16 v160, v49, s3, -v159
	v_add_f16_e32 v154, v154, v160
	v_mul_f16_e32 v160, 0xb1e1, v80
	v_fma_f16 v161, v51, s0, -v160
	v_add_f16_e32 v154, v154, v161
	v_mul_f16_e32 v161, 0x3b29, v83
	v_fma_f16 v162, v56, s8, -v161
	v_add_f16_e32 v154, v154, v162
	v_mul_f16_e32 v162, 0xb836, v15
	v_fma_f16 v163, v64, s4, v162
	v_mul_f16_e32 v164, 0x3b29, v19
	v_add_f16_e32 v163, v5, v163
	v_fma_f16 v165, v63, s8, v164
	v_add_f16_e32 v163, v163, v165
	v_mul_f16_e32 v165, 0xbbf7, v20
	v_fma_f16 v166, v62, s2, v165
	v_add_f16_e32 v163, v163, v166
	v_mul_f16_e32 v166, 0x3a62, v21
	;; [unrolled: 3-line block ×7, first 2 shown]
	v_fma_f16 v172, v42, s4, -v171
	v_mul_f16_e32 v173, 0x3b29, v70
	v_add_f16_e32 v172, v4, v172
	v_fma_f16 v174, v44, s8, -v173
	v_add_f16_e32 v172, v172, v174
	v_mul_f16_e32 v174, 0xbbf7, v71
	v_fma_f16 v175, v46, s2, -v174
	v_add_f16_e32 v172, v172, v175
	v_mul_f16_e32 v175, 0x3a62, v72
	;; [unrolled: 3-line block ×3, first 2 shown]
	v_fma_f16 v81, v64, s3, -v81
	v_fma_f16 v177, v48, s9, -v176
	v_add_f16_e32 v81, v5, v81
	v_fma_f16 v79, v63, s2, -v79
	v_add_f16_e32 v172, v172, v177
	v_mul_f16_e32 v177, 0xb1e1, v77
	v_add_f16_e32 v79, v81, v79
	v_fma_f16 v78, v62, s1, -v78
	v_fma_f16 v178, v49, s0, -v177
	v_add_f16_e32 v78, v79, v78
	v_fma_f16 v76, v61, s0, -v76
	v_add_f16_e32 v172, v172, v178
	v_mul_f16_e32 v178, 0x3964, v80
	v_add_f16_e32 v76, v78, v76
	;; [unrolled: 7-line block ×4, first 2 shown]
	v_fma_f16 v75, v42, s3, v87
	v_add_f16_e32 v11, v5, v11
	v_fma_f16 v181, v64, s0, v180
	v_mul_f16_e32 v182, 0x35c8, v19
	v_add_f16_e32 v75, v4, v75
	v_fma_f16 v76, v44, s2, v88
	v_add_f16_e32 v11, v11, v12
	v_add_f16_e32 v181, v5, v181
	v_fma_f16 v183, v63, s9, v182
	v_add_f16_e32 v75, v75, v76
	v_fma_f16 v76, v46, s1, v89
	v_add_f16_e32 v11, v11, v24
	v_add_f16_e32 v181, v181, v183
	v_mul_f16_e32 v183, 0xb836, v20
	v_add_f16_e32 v75, v75, v76
	v_fma_f16 v76, v47, s0, v90
	v_add_f16_e32 v11, v11, v26
	v_fma_f16 v184, v62, s4, v183
	;; [unrolled: 2-line block ×3, first 2 shown]
	v_add_f16_e32 v11, v11, v28
	v_add_f16_e32 v181, v181, v184
	v_mul_f16_e32 v184, 0x3964, v21
	v_add_f16_e32 v75, v75, v76
	v_fma_f16 v76, v49, s5, v92
	v_add_f16_e32 v11, v11, v29
	v_fma_f16 v185, v61, s3, v184
	;; [unrolled: 2-line block ×3, first 2 shown]
	v_add_f16_e32 v11, v11, v45
	v_add_f16_e32 v181, v181, v185
	v_mul_f16_e32 v185, 0xba62, v22
	v_fma_f16 v180, v64, s0, -v180
	v_fma_f16 v162, v64, s4, -v162
	;; [unrolled: 1-line block ×6, first 2 shown]
	v_add_f16_e32 v75, v75, v76
	v_fma_f16 v76, v56, s9, v95
	v_mul_f16_e32 v64, 0x3b76, v64
	v_add_f16_e32 v11, v11, v54
	v_fma_f16 v186, v59, s1, v185
	v_add_f16_e32 v180, v5, v180
	v_fma_f16 v182, v63, s9, -v182
	v_add_f16_e32 v162, v5, v162
	v_fma_f16 v164, v63, s8, -v164
	;; [unrolled: 2-line block ×6, first 2 shown]
	v_add_f16_e32 v75, v75, v76
	v_fma_f16 v76, v15, s10, v64
	v_mul_f16_e32 v63, 0x39e9, v63
	v_add_f16_e32 v11, v11, v50
	v_add_f16_e32 v181, v181, v186
	v_mul_f16_e32 v186, 0x3b29, v23
	v_add_f16_e32 v180, v180, v182
	v_fma_f16 v182, v62, s4, -v183
	v_add_f16_e32 v162, v162, v164
	v_fma_f16 v164, v62, s2, -v165
	v_add_f16_e32 v144, v144, v146
	v_fma_f16 v146, v62, s9, -v147
	v_add_f16_e32 v128, v128, v129
	v_fma_f16 v129, v62, s3, -v130
	v_add_f16_e32 v112, v112, v113
	v_fma_f16 v113, v62, s5, -v114
	v_add_f16_e32 v96, v96, v97
	v_fma_f16 v97, v62, s0, -v98
	v_add_f16_e32 v76, v5, v76
	v_fma_f16 v78, v19, s11, v63
	s_movk_i32 s10, 0x3b29
	v_mul_f16_e32 v62, 0x3722, v62
	v_add_f16_e32 v11, v43, v11
	v_fma_f16 v187, v65, s8, v186
	v_add_f16_e32 v180, v180, v182
	v_fma_f16 v182, v61, s3, -v184
	v_add_f16_e32 v162, v162, v164
	v_fma_f16 v164, v61, s1, -v166
	v_add_f16_e32 v144, v144, v146
	v_fma_f16 v146, v61, s4, -v148
	v_add_f16_e32 v128, v128, v129
	v_fma_f16 v129, v61, s8, -v131
	v_add_f16_e32 v112, v112, v113
	v_fma_f16 v113, v61, s9, -v115
	v_add_f16_e32 v96, v96, v97
	v_fma_f16 v97, v61, s5, -v99
	v_add_f16_e32 v76, v76, v78
	v_fma_f16 v78, v20, s10, v62
	s_movk_i32 s10, 0x3bf7
	v_mul_f16_e32 v61, 0x2de8, v61
	v_add_f16_e32 v11, v27, v11
	v_add_f16_e32 v181, v181, v187
	v_mul_f16_e32 v187, 0xbbb2, v35
	v_add_f16_e32 v180, v180, v182
	v_fma_f16 v182, v59, s1, -v185
	v_add_f16_e32 v162, v162, v164
	v_fma_f16 v164, v59, s9, -v167
	v_add_f16_e32 v144, v144, v146
	v_fma_f16 v146, v59, s2, -v149
	v_add_f16_e32 v128, v128, v129
	v_fma_f16 v129, v59, s0, -v132
	v_add_f16_e32 v112, v112, v113
	v_fma_f16 v113, v59, s8, -v116
	v_add_f16_e32 v96, v96, v97
	v_fma_f16 v97, v59, s3, -v100
	v_add_f16_e32 v76, v76, v78
	v_fma_f16 v78, v21, s10, v61
	s_movk_i32 s10, 0x3bb2
	v_mul_f16_e32 v59, 0xb461, v59
	v_add_f16_e32 v11, v14, v11
	v_fma_f16 v188, v66, s5, v187
	v_add_f16_e32 v180, v180, v182
	v_fma_f16 v182, v65, s8, -v186
	v_add_f16_e32 v162, v162, v164
	v_fma_f16 v164, v65, s0, -v168
	v_add_f16_e32 v144, v144, v146
	v_fma_f16 v146, v65, s3, -v150
	v_add_f16_e32 v128, v128, v129
	v_fma_f16 v129, v65, s2, -v133
	v_add_f16_e32 v112, v112, v113
	v_fma_f16 v113, v65, s4, -v117
	v_add_f16_e32 v96, v96, v97
	v_fma_f16 v97, v65, s9, -v101
	v_add_f16_e32 v76, v76, v78
	v_fma_f16 v78, v22, s10, v59
	s_movk_i32 s10, 0x3a62
	;; [unrolled: 37-line block ×3, first 2 shown]
	v_mul_f16_e32 v68, 0xbbdd, v68
	v_add_f16_e32 v6, v6, v7
	v_add_f16_e32 v76, v76, v78
	v_fma_f16 v78, v41, s10, v68
	s_mov_b32 s10, 0xb964
	v_add_f16_e32 v6, v0, v6
	v_fma_f16 v0, v15, s15, v64
	v_add_f16_e32 v181, v181, v189
	v_mul_f16_e32 v189, 0xb1e1, v69
	v_add_f16_e32 v0, v5, v0
	v_fma_f16 v5, v19, s10, v63
	v_fma_f16 v190, v42, s0, -v189
	v_mul_f16_e32 v191, 0x35c8, v70
	v_add_f16_e32 v30, v4, v30
	s_mov_b32 s11, 0xbbf7
	v_add_f16_e32 v0, v0, v5
	v_fma_f16 v5, v20, s14, v62
	v_add_f16_e32 v190, v4, v190
	v_fma_f16 v192, v44, s9, -v191
	v_add_f16_e32 v30, v30, v32
	v_add_f16_e32 v0, v0, v5
	v_fma_f16 v5, v21, s11, v61
	v_add_f16_e32 v190, v190, v192
	v_mul_f16_e32 v192, 0xb836, v71
	v_add_f16_e32 v30, v30, v33
	v_add_f16_e32 v0, v0, v5
	v_fma_f16 v5, v22, s17, v59
	v_fma_f16 v193, v46, s4, -v192
	v_mul_f16_e32 v69, 0xb5c8, v69
	v_add_f16_e32 v30, v30, v36
	v_add_f16_e32 v0, v0, v5
	v_fma_f16 v5, v23, s12, v65
	v_add_f16_e32 v190, v190, v193
	v_mul_f16_e32 v193, 0x3964, v72
	v_add_f16_e32 v76, v76, v78
	v_fma_f16 v78, v42, s9, v69
	v_mul_f16_e32 v70, 0xb964, v70
	v_add_f16_e32 v30, v30, v38
	v_add_f16_e32 v0, v0, v5
	v_fma_f16 v5, v35, s16, v66
	v_fma_f16 v194, v47, s3, -v193
	v_add_f16_e32 v78, v4, v78
	v_fma_f16 v79, v44, s3, v70
	v_mul_f16_e32 v71, 0xbb29, v71
	v_add_f16_e32 v30, v30, v39
	v_add_f16_e32 v0, v0, v5
	v_fma_f16 v5, v41, s13, v68
	v_add_f16_e32 v190, v190, v194
	v_mul_f16_e32 v194, 0xba62, v74
	v_add_f16_e32 v180, v180, v182
	v_fma_f16 v182, v42, s0, v189
	v_add_f16_e32 v162, v162, v164
	v_fma_f16 v164, v42, s4, v171
	;; [unrolled: 2-line block ×7, first 2 shown]
	v_mul_f16_e32 v72, 0xbbf7, v72
	v_add_f16_e32 v30, v30, v55
	v_add_f16_e32 v5, v0, v5
	v_fma_f16 v0, v42, s9, -v69
	v_fma_f16 v195, v48, s1, -v194
	v_add_f16_e32 v182, v4, v182
	v_add_f16_e32 v164, v4, v164
	;; [unrolled: 1-line block ×7, first 2 shown]
	v_fma_f16 v79, v47, s2, v72
	v_mul_f16_e32 v74, 0xbbb2, v74
	v_add_f16_e32 v30, v30, v57
	v_add_f16_e32 v0, v4, v0
	v_fma_f16 v4, v44, s3, -v70
	v_add_f16_e32 v190, v190, v195
	v_mul_f16_e32 v195, 0x3b29, v77
	v_add_f16_e32 v78, v78, v79
	v_fma_f16 v79, v48, s5, v74
	v_mul_f16_e32 v77, 0xba62, v77
	v_add_f16_e32 v30, v30, v58
	v_add_f16_e32 v0, v0, v4
	v_fma_f16 v4, v46, s8, -v71
	v_add_f16_e32 v78, v78, v79
	v_fma_f16 v79, v49, s1, v77
	v_add_f16_e32 v30, v53, v30
	v_add_f16_e32 v0, v0, v4
	v_fma_f16 v4, v47, s2, -v72
	v_fma_f16 v196, v49, s8, -v195
	v_add_f16_e32 v78, v78, v79
	v_mul_f16_e32 v79, 0xb836, v80
	v_add_f16_e32 v30, v37, v30
	v_add_f16_e32 v0, v0, v4
	v_fma_f16 v4, v48, s5, -v74
	v_add_f16_e32 v190, v190, v196
	v_mul_f16_e32 v196, 0xbbb2, v80
	v_fma_f16 v98, v44, s1, v105
	v_fma_f16 v80, v51, s4, v79
	v_add_f16_e32 v30, v34, v30
	v_add_f16_e32 v0, v0, v4
	v_fma_f16 v4, v49, s1, -v77
	v_fma_f16 v114, v44, s0, v121
	v_add_f16_e32 v97, v97, v98
	v_fma_f16 v98, v46, s0, v106
	v_add_f16_e32 v78, v78, v80
	v_mul_f16_e32 v80, 0xb1e1, v83
	v_add_f16_e32 v30, v31, v30
	v_add_f16_e32 v0, v0, v4
	v_fma_f16 v4, v51, s4, -v79
	v_fma_f16 v130, v44, s4, v137
	v_add_f16_e32 v113, v113, v114
	v_fma_f16 v114, v46, s5, v122
	v_add_f16_e32 v97, v97, v98
	v_fma_f16 v98, v47, s5, v107
	v_add_f16_e32 v25, v25, v30
	v_add_f16_e32 v0, v0, v4
	v_fma_f16 v4, v56, s0, -v80
	v_fma_f16 v147, v44, s5, v155
	v_add_f16_e32 v129, v129, v130
	v_fma_f16 v130, v46, s3, v138
	v_add_f16_e32 v113, v113, v114
	;; [unrolled: 2-line block ×4, first 2 shown]
	v_add_f16_e32 v4, v0, v4
	v_mov_b32_e32 v19, v1
	v_lshl_add_u64 v[0:1], v[2:3], 2, s[6:7]
	v_fma_f16 v165, v44, s8, v173
	v_add_f16_e32 v146, v146, v147
	v_fma_f16 v147, v46, s9, v156
	v_add_f16_e32 v129, v129, v130
	;; [unrolled: 2-line block ×4, first 2 shown]
	v_fma_f16 v98, v49, s9, v109
	v_fma_f16 v81, v56, s0, v80
	v_add_f16_e32 v9, v9, v13
	v_lshl_add_u64 v[0:1], v[16:17], 2, v[0:1]
	v_fma_f16 v183, v44, s9, v191
	v_add_f16_e32 v164, v164, v165
	v_fma_f16 v165, v46, s2, v174
	v_add_f16_e32 v146, v146, v147
	;; [unrolled: 2-line block ×6, first 2 shown]
	v_lshl_add_u64 v[0:1], v[18:19], 2, v[0:1]
	v_pack_b32_f16 v2, v9, v6
	v_add_f16_e32 v182, v182, v183
	v_fma_f16 v183, v46, s4, v192
	v_add_f16_e32 v164, v164, v165
	v_fma_f16 v165, v47, s1, v175
	;; [unrolled: 2-line block ×6, first 2 shown]
	global_store_dword v[0:1], v2, off
	v_pack_b32_f16 v2, v78, v76
	v_add_f16_e32 v182, v182, v183
	v_fma_f16 v183, v47, s3, v193
	v_add_f16_e32 v164, v164, v165
	v_fma_f16 v165, v48, s9, v176
	;; [unrolled: 2-line block ×5, first 2 shown]
	v_add_f16_e32 v97, v97, v98
	global_store_dword v[0:1], v2, off offset:208
	v_pack_b32_f16 v2, v75, v73
	v_add_f16_e32 v182, v182, v183
	v_fma_f16 v183, v48, s1, v194
	v_add_f16_e32 v164, v164, v165
	v_fma_f16 v165, v49, s0, v177
	v_add_f16_e32 v146, v146, v147
	v_fma_f16 v147, v51, s0, v160
	v_add_f16_e32 v129, v129, v130
	v_fma_f16 v130, v56, s1, v143
	v_add_f16_e32 v113, v113, v114
	global_store_dword v[0:1], v2, off offset:416
	v_pack_b32_f16 v2, v97, v96
	v_fma_f16 v197, v51, s5, -v196
	v_add_f16_e32 v182, v182, v183
	v_fma_f16 v183, v49, s8, v195
	v_add_f16_e32 v164, v164, v165
	v_fma_f16 v165, v51, s3, v178
	;; [unrolled: 2-line block ×3, first 2 shown]
	v_add_f16_e32 v129, v129, v130
	global_store_dword v[0:1], v2, off offset:624
	v_pack_b32_f16 v2, v113, v112
	v_add_f16_e32 v190, v190, v197
	v_mul_f16_e32 v197, 0x3bf7, v83
	v_add_f16_e32 v182, v182, v183
	v_fma_f16 v183, v51, s5, v196
	v_add_f16_e32 v164, v164, v165
	v_fma_f16 v165, v56, s5, v179
	v_add_f16_e32 v146, v146, v147
	global_store_dword v[0:1], v2, off offset:832
	v_pack_b32_f16 v2, v129, v128
	v_add_f16_e32 v182, v182, v183
	v_fma_f16 v183, v56, s2, v197
	v_add_f16_e32 v164, v164, v165
	global_store_dword v[0:1], v2, off offset:1040
	v_pack_b32_f16 v2, v146, v144
	v_fma_f16 v198, v56, s2, -v197
	v_add_f16_e32 v182, v182, v183
	global_store_dword v[0:1], v2, off offset:1248
	v_pack_b32_f16 v2, v164, v162
	v_add_f16_e32 v190, v190, v198
	global_store_dword v[0:1], v2, off offset:1456
	v_pack_b32_f16 v2, v182, v180
	global_store_dword v[0:1], v2, off offset:1664
	v_pack_b32_f16 v2, v190, v181
	;; [unrolled: 2-line block ×9, first 2 shown]
	global_store_dword v[0:1], v2, off offset:3328
.LBB0_26:
	s_endpgm
	.section	.rodata,"a",@progbits
	.p2align	6, 0x0
	.amdhsa_kernel fft_rtc_back_len884_factors_13_4_17_wgs_204_tpt_68_halfLds_half_op_CI_CI_unitstride_sbrr_dirReg
		.amdhsa_group_segment_fixed_size 0
		.amdhsa_private_segment_fixed_size 0
		.amdhsa_kernarg_size 104
		.amdhsa_user_sgpr_count 2
		.amdhsa_user_sgpr_dispatch_ptr 0
		.amdhsa_user_sgpr_queue_ptr 0
		.amdhsa_user_sgpr_kernarg_segment_ptr 1
		.amdhsa_user_sgpr_dispatch_id 0
		.amdhsa_user_sgpr_kernarg_preload_length 0
		.amdhsa_user_sgpr_kernarg_preload_offset 0
		.amdhsa_user_sgpr_private_segment_size 0
		.amdhsa_uses_dynamic_stack 0
		.amdhsa_enable_private_segment 0
		.amdhsa_system_sgpr_workgroup_id_x 1
		.amdhsa_system_sgpr_workgroup_id_y 0
		.amdhsa_system_sgpr_workgroup_id_z 0
		.amdhsa_system_sgpr_workgroup_info 0
		.amdhsa_system_vgpr_workitem_id 0
		.amdhsa_next_free_vgpr 199
		.amdhsa_next_free_sgpr 36
		.amdhsa_accum_offset 200
		.amdhsa_reserve_vcc 1
		.amdhsa_float_round_mode_32 0
		.amdhsa_float_round_mode_16_64 0
		.amdhsa_float_denorm_mode_32 3
		.amdhsa_float_denorm_mode_16_64 3
		.amdhsa_dx10_clamp 1
		.amdhsa_ieee_mode 1
		.amdhsa_fp16_overflow 0
		.amdhsa_tg_split 0
		.amdhsa_exception_fp_ieee_invalid_op 0
		.amdhsa_exception_fp_denorm_src 0
		.amdhsa_exception_fp_ieee_div_zero 0
		.amdhsa_exception_fp_ieee_overflow 0
		.amdhsa_exception_fp_ieee_underflow 0
		.amdhsa_exception_fp_ieee_inexact 0
		.amdhsa_exception_int_div_zero 0
	.end_amdhsa_kernel
	.text
.Lfunc_end0:
	.size	fft_rtc_back_len884_factors_13_4_17_wgs_204_tpt_68_halfLds_half_op_CI_CI_unitstride_sbrr_dirReg, .Lfunc_end0-fft_rtc_back_len884_factors_13_4_17_wgs_204_tpt_68_halfLds_half_op_CI_CI_unitstride_sbrr_dirReg
                                        ; -- End function
	.section	.AMDGPU.csdata,"",@progbits
; Kernel info:
; codeLenInByte = 12128
; NumSgprs: 42
; NumVgprs: 199
; NumAgprs: 0
; TotalNumVgprs: 199
; ScratchSize: 0
; MemoryBound: 0
; FloatMode: 240
; IeeeMode: 1
; LDSByteSize: 0 bytes/workgroup (compile time only)
; SGPRBlocks: 5
; VGPRBlocks: 24
; NumSGPRsForWavesPerEU: 42
; NumVGPRsForWavesPerEU: 199
; AccumOffset: 200
; Occupancy: 2
; WaveLimiterHint : 1
; COMPUTE_PGM_RSRC2:SCRATCH_EN: 0
; COMPUTE_PGM_RSRC2:USER_SGPR: 2
; COMPUTE_PGM_RSRC2:TRAP_HANDLER: 0
; COMPUTE_PGM_RSRC2:TGID_X_EN: 1
; COMPUTE_PGM_RSRC2:TGID_Y_EN: 0
; COMPUTE_PGM_RSRC2:TGID_Z_EN: 0
; COMPUTE_PGM_RSRC2:TIDIG_COMP_CNT: 0
; COMPUTE_PGM_RSRC3_GFX90A:ACCUM_OFFSET: 49
; COMPUTE_PGM_RSRC3_GFX90A:TG_SPLIT: 0
	.text
	.p2alignl 6, 3212836864
	.fill 256, 4, 3212836864
	.type	__hip_cuid_baa441f75f536749,@object ; @__hip_cuid_baa441f75f536749
	.section	.bss,"aw",@nobits
	.globl	__hip_cuid_baa441f75f536749
__hip_cuid_baa441f75f536749:
	.byte	0                               ; 0x0
	.size	__hip_cuid_baa441f75f536749, 1

	.ident	"AMD clang version 19.0.0git (https://github.com/RadeonOpenCompute/llvm-project roc-6.4.0 25133 c7fe45cf4b819c5991fe208aaa96edf142730f1d)"
	.section	".note.GNU-stack","",@progbits
	.addrsig
	.addrsig_sym __hip_cuid_baa441f75f536749
	.amdgpu_metadata
---
amdhsa.kernels:
  - .agpr_count:     0
    .args:
      - .actual_access:  read_only
        .address_space:  global
        .offset:         0
        .size:           8
        .value_kind:     global_buffer
      - .offset:         8
        .size:           8
        .value_kind:     by_value
      - .actual_access:  read_only
        .address_space:  global
        .offset:         16
        .size:           8
        .value_kind:     global_buffer
      - .actual_access:  read_only
        .address_space:  global
        .offset:         24
        .size:           8
        .value_kind:     global_buffer
      - .actual_access:  read_only
        .address_space:  global
        .offset:         32
        .size:           8
        .value_kind:     global_buffer
      - .offset:         40
        .size:           8
        .value_kind:     by_value
      - .actual_access:  read_only
        .address_space:  global
        .offset:         48
        .size:           8
        .value_kind:     global_buffer
      - .actual_access:  read_only
        .address_space:  global
        .offset:         56
        .size:           8
        .value_kind:     global_buffer
      - .offset:         64
        .size:           4
        .value_kind:     by_value
      - .actual_access:  read_only
        .address_space:  global
        .offset:         72
        .size:           8
        .value_kind:     global_buffer
      - .actual_access:  read_only
        .address_space:  global
        .offset:         80
        .size:           8
        .value_kind:     global_buffer
      - .actual_access:  read_only
        .address_space:  global
        .offset:         88
        .size:           8
        .value_kind:     global_buffer
      - .actual_access:  write_only
        .address_space:  global
        .offset:         96
        .size:           8
        .value_kind:     global_buffer
    .group_segment_fixed_size: 0
    .kernarg_segment_align: 8
    .kernarg_segment_size: 104
    .language:       OpenCL C
    .language_version:
      - 2
      - 0
    .max_flat_workgroup_size: 204
    .name:           fft_rtc_back_len884_factors_13_4_17_wgs_204_tpt_68_halfLds_half_op_CI_CI_unitstride_sbrr_dirReg
    .private_segment_fixed_size: 0
    .sgpr_count:     42
    .sgpr_spill_count: 0
    .symbol:         fft_rtc_back_len884_factors_13_4_17_wgs_204_tpt_68_halfLds_half_op_CI_CI_unitstride_sbrr_dirReg.kd
    .uniform_work_group_size: 1
    .uses_dynamic_stack: false
    .vgpr_count:     199
    .vgpr_spill_count: 0
    .wavefront_size: 64
amdhsa.target:   amdgcn-amd-amdhsa--gfx950
amdhsa.version:
  - 1
  - 2
...

	.end_amdgpu_metadata
